;; amdgpu-corpus repo=ROCm/rocFFT kind=compiled arch=gfx950 opt=O3
	.text
	.amdgcn_target "amdgcn-amd-amdhsa--gfx950"
	.amdhsa_code_object_version 6
	.protected	bluestein_single_fwd_len750_dim1_dp_op_CI_CI ; -- Begin function bluestein_single_fwd_len750_dim1_dp_op_CI_CI
	.globl	bluestein_single_fwd_len750_dim1_dp_op_CI_CI
	.p2align	8
	.type	bluestein_single_fwd_len750_dim1_dp_op_CI_CI,@function
bluestein_single_fwd_len750_dim1_dp_op_CI_CI: ; @bluestein_single_fwd_len750_dim1_dp_op_CI_CI
; %bb.0:
	s_load_dwordx4 s[4:7], s[0:1], 0x28
	v_mul_u32_u24_e32 v1, 0x107, v0
	v_add_u32_sdwa v82, s2, v1 dst_sel:DWORD dst_unused:UNUSED_PAD src0_sel:DWORD src1_sel:WORD_1
	v_mov_b32_e32 v83, 0
	s_waitcnt lgkmcnt(0)
	v_cmp_gt_u64_e32 vcc, s[4:5], v[82:83]
	s_and_saveexec_b64 s[2:3], vcc
	s_cbranch_execz .LBB0_31
; %bb.1:
	s_load_dwordx2 s[14:15], s[0:1], 0x0
	s_load_dwordx2 s[12:13], s[0:1], 0x38
	s_movk_i32 s2, 0xfa
	v_mul_lo_u16_sdwa v1, v1, s2 dst_sel:DWORD dst_unused:UNUSED_PAD src0_sel:WORD_1 src1_sel:DWORD
	v_sub_u16_e32 v83, v0, v1
	s_movk_i32 s2, 0x4b
	v_cmp_gt_u16_e64 s[4:5], s2, v83
	v_lshlrev_b32_e32 v80, 4, v83
	s_and_saveexec_b64 s[2:3], s[4:5]
	s_cbranch_execz .LBB0_3
; %bb.2:
	s_load_dwordx2 s[8:9], s[0:1], 0x18
	v_mov_b32_e32 v0, s6
	v_mov_b32_e32 v1, s7
	;; [unrolled: 1-line block ×4, first 2 shown]
	s_waitcnt lgkmcnt(0)
	s_load_dwordx4 s[8:11], s[8:9], 0x0
	v_lshl_add_u64 v[34:35], s[14:15], 0, v[80:81]
	s_waitcnt lgkmcnt(0)
	v_mad_u64_u32 v[2:3], s[6:7], s10, v82, 0
	v_mad_u64_u32 v[4:5], s[6:7], s8, v83, 0
	v_mov_b32_e32 v6, v3
	v_mov_b32_e32 v8, v5
	v_mad_u64_u32 v[6:7], s[6:7], s11, v82, v[6:7]
	v_mov_b32_e32 v3, v6
	v_mad_u64_u32 v[6:7], s[6:7], s9, v83, v[8:9]
	v_mov_b32_e32 v5, v6
	v_lshl_add_u64 v[0:1], v[2:3], 4, v[0:1]
	v_lshl_add_u64 v[4:5], v[4:5], 4, v[0:1]
	v_mad_u64_u32 v[28:29], s[6:7], s8, v84, v[4:5]
	s_mul_i32 s6, s9, 0x4b0
	s_nop 0
	v_add_u32_e32 v29, s6, v29
	v_mad_u64_u32 v[30:31], s[10:11], s8, v84, v[28:29]
	global_load_dwordx4 v[0:3], v[4:5], off
	v_add_u32_e32 v31, s6, v31
	global_load_dwordx4 v[4:7], v80, s[14:15]
	global_load_dwordx4 v[8:11], v80, s[14:15] offset:1200
	v_mad_u64_u32 v[32:33], s[10:11], s8, v84, v[30:31]
	v_add_u32_e32 v33, s6, v33
	s_movk_i32 s7, 0x1000
	global_load_dwordx4 v[16:19], v[28:29], off
	global_load_dwordx4 v[12:15], v[30:31], off
	global_load_dwordx4 v[20:23], v80, s[14:15] offset:2400
	global_load_dwordx4 v[24:27], v80, s[14:15] offset:3600
	v_add_co_u32_e32 v60, vcc, s7, v34
	global_load_dwordx4 v[28:31], v[32:33], off
	v_mad_u64_u32 v[44:45], s[10:11], s8, v84, v[32:33]
	s_movk_i32 s9, 0x2000
	v_addc_co_u32_e32 v61, vcc, 0, v35, vcc
	v_add_u32_e32 v45, s6, v45
	v_add_co_u32_e32 v76, vcc, s9, v34
	v_mad_u64_u32 v[48:49], s[10:11], s8, v84, v[44:45]
	s_nop 0
	v_addc_co_u32_e32 v77, vcc, 0, v35, vcc
	global_load_dwordx4 v[32:35], v[44:45], off
	global_load_dwordx4 v[36:39], v[60:61], off offset:704
	global_load_dwordx4 v[40:43], v[60:61], off offset:1904
	v_add_u32_e32 v49, s6, v49
	global_load_dwordx4 v[44:47], v[48:49], off
	v_mad_u64_u32 v[62:63], s[10:11], s8, v84, v[48:49]
	v_add_u32_e32 v63, s6, v63
	v_mad_u64_u32 v[64:65], s[10:11], s8, v84, v[62:63]
	global_load_dwordx4 v[48:51], v[62:63], off
	global_load_dwordx4 v[52:55], v[60:61], off offset:3104
	global_load_dwordx4 v[56:59], v[76:77], off offset:208
	v_add_u32_e32 v65, s6, v65
	global_load_dwordx4 v[60:63], v[64:65], off
	v_mad_u64_u32 v[78:79], s[10:11], s8, v84, v[64:65]
	v_add_u32_e32 v79, s6, v79
	global_load_dwordx4 v[64:67], v[78:79], off
	global_load_dwordx4 v[68:71], v[76:77], off offset:1408
	global_load_dwordx4 v[72:75], v[76:77], off offset:2608
	v_mad_u64_u32 v[76:77], s[8:9], s8, v84, v[78:79]
	v_add_u32_e32 v77, s6, v77
	global_load_dwordx4 v[76:79], v[76:77], off
	s_waitcnt vmcnt(18)
	v_mul_f64 v[84:85], v[2:3], v[6:7]
	v_mul_f64 v[6:7], v[0:1], v[6:7]
	v_fmac_f64_e32 v[84:85], v[0:1], v[4:5]
	v_fma_f64 v[86:87], v[2:3], v[4:5], -v[6:7]
	s_waitcnt vmcnt(16)
	v_mul_f64 v[0:1], v[18:19], v[10:11]
	v_mul_f64 v[2:3], v[16:17], v[10:11]
	v_fmac_f64_e32 v[0:1], v[16:17], v[8:9]
	v_fma_f64 v[2:3], v[18:19], v[8:9], -v[2:3]
	ds_write_b128 v80, v[0:3] offset:1200
	s_waitcnt vmcnt(12)
	v_mul_f64 v[0:1], v[30:31], v[26:27]
	v_mul_f64 v[2:3], v[28:29], v[26:27]
	v_fmac_f64_e32 v[0:1], v[28:29], v[24:25]
	v_fma_f64 v[2:3], v[30:31], v[24:25], -v[2:3]
	ds_write_b128 v80, v[0:3] offset:3600
	v_mul_f64 v[4:5], v[14:15], v[22:23]
	v_mul_f64 v[6:7], v[12:13], v[22:23]
	v_fmac_f64_e32 v[4:5], v[12:13], v[20:21]
	v_fma_f64 v[6:7], v[14:15], v[20:21], -v[6:7]
	ds_write_b128 v80, v[84:87]
	ds_write_b128 v80, v[4:7] offset:2400
	s_waitcnt vmcnt(10)
	v_mul_f64 v[0:1], v[34:35], v[38:39]
	v_mul_f64 v[2:3], v[32:33], v[38:39]
	v_fmac_f64_e32 v[0:1], v[32:33], v[36:37]
	v_fma_f64 v[2:3], v[34:35], v[36:37], -v[2:3]
	ds_write_b128 v80, v[0:3] offset:4800
	s_waitcnt vmcnt(8)
	v_mul_f64 v[0:1], v[46:47], v[42:43]
	v_mul_f64 v[2:3], v[44:45], v[42:43]
	v_fmac_f64_e32 v[0:1], v[44:45], v[40:41]
	v_fma_f64 v[2:3], v[46:47], v[40:41], -v[2:3]
	;; [unrolled: 6-line block ×6, first 2 shown]
	ds_write_b128 v80, v[0:3] offset:10800
.LBB0_3:
	s_or_b64 exec, exec, s[2:3]
	s_waitcnt lgkmcnt(0)
	s_barrier
	s_waitcnt lgkmcnt(0)
                                        ; implicit-def: $vgpr0_vgpr1
                                        ; implicit-def: $vgpr4_vgpr5
                                        ; implicit-def: $vgpr24_vgpr25
                                        ; implicit-def: $vgpr8_vgpr9
                                        ; implicit-def: $vgpr28_vgpr29
                                        ; implicit-def: $vgpr12_vgpr13
                                        ; implicit-def: $vgpr32_vgpr33
                                        ; implicit-def: $vgpr16_vgpr17
                                        ; implicit-def: $vgpr36_vgpr37
                                        ; implicit-def: $vgpr20_vgpr21
	s_and_saveexec_b64 s[2:3], s[4:5]
	s_cbranch_execz .LBB0_5
; %bb.4:
	ds_read_b128 v[0:3], v80
	ds_read_b128 v[4:7], v80 offset:1200
	ds_read_b128 v[24:27], v80 offset:2400
	;; [unrolled: 1-line block ×9, first 2 shown]
.LBB0_5:
	s_or_b64 exec, exec, s[2:3]
	s_waitcnt lgkmcnt(3)
	v_add_f64 v[42:43], v[28:29], v[32:33]
	s_mov_b32 s16, 0x134454ff
	v_fma_f64 v[48:49], -0.5, v[42:43], v[0:1]
	s_waitcnt lgkmcnt(1)
	v_add_f64 v[42:43], v[26:27], -v[38:39]
	s_mov_b32 s17, 0x3fee6f0e
	s_mov_b32 s2, 0x4755a5e
	;; [unrolled: 1-line block ×4, first 2 shown]
	v_fma_f64 v[50:51], s[16:17], v[42:43], v[48:49]
	v_add_f64 v[44:45], v[30:31], -v[34:35]
	s_mov_b32 s3, 0x3fe2cf23
	v_add_f64 v[46:47], v[24:25], -v[28:29]
	v_add_f64 v[52:53], v[36:37], -v[32:33]
	s_mov_b32 s10, 0x372fe950
	v_fmac_f64_e32 v[48:49], s[18:19], v[42:43]
	s_mov_b32 s9, 0xbfe2cf23
	s_mov_b32 s8, s2
	v_fmac_f64_e32 v[50:51], s[2:3], v[44:45]
	v_add_f64 v[46:47], v[46:47], v[52:53]
	s_mov_b32 s11, 0x3fd3c6ef
	v_fmac_f64_e32 v[48:49], s[8:9], v[44:45]
	v_fmac_f64_e32 v[50:51], s[10:11], v[46:47]
	v_fmac_f64_e32 v[48:49], s[10:11], v[46:47]
	v_add_f64 v[46:47], v[24:25], v[36:37]
	v_add_f64 v[40:41], v[0:1], v[24:25]
	v_fmac_f64_e32 v[0:1], -0.5, v[46:47]
	v_fma_f64 v[54:55], s[18:19], v[44:45], v[0:1]
	v_fmac_f64_e32 v[0:1], s[16:17], v[44:45]
	v_fmac_f64_e32 v[54:55], s[2:3], v[42:43]
	;; [unrolled: 1-line block ×3, first 2 shown]
	v_add_f64 v[42:43], v[30:31], v[34:35]
	v_add_f64 v[46:47], v[28:29], -v[24:25]
	v_fma_f64 v[60:61], -0.5, v[42:43], v[2:3]
	v_add_f64 v[24:25], v[24:25], -v[36:37]
	v_add_f64 v[42:43], v[26:27], -v[30:31]
	v_add_f64 v[44:45], v[38:39], -v[34:35]
	v_add_f64 v[52:53], v[32:33], -v[36:37]
	v_fma_f64 v[58:59], s[18:19], v[24:25], v[60:61]
	v_add_f64 v[42:43], v[42:43], v[44:45]
	v_add_f64 v[44:45], v[28:29], -v[32:33]
	v_fmac_f64_e32 v[60:61], s[16:17], v[24:25]
	v_add_f64 v[46:47], v[46:47], v[52:53]
	v_fmac_f64_e32 v[58:59], s[8:9], v[44:45]
	v_fmac_f64_e32 v[60:61], s[2:3], v[44:45]
	;; [unrolled: 1-line block ×6, first 2 shown]
	v_add_f64 v[42:43], v[2:3], v[26:27]
	v_add_f64 v[46:47], v[26:27], v[38:39]
	;; [unrolled: 1-line block ×3, first 2 shown]
	v_fmac_f64_e32 v[2:3], -0.5, v[46:47]
	v_add_f64 v[28:29], v[28:29], v[32:33]
	v_add_f64 v[32:33], v[42:43], v[30:31]
	;; [unrolled: 1-line block ×3, first 2 shown]
	v_add_f64 v[26:27], v[30:31], -v[26:27]
	v_fma_f64 v[30:31], s[16:17], v[44:45], v[2:3]
	v_add_f64 v[34:35], v[34:35], -v[38:39]
	v_fmac_f64_e32 v[2:3], s[18:19], v[44:45]
	v_fmac_f64_e32 v[30:31], s[8:9], v[24:25]
	v_add_f64 v[26:27], v[26:27], v[34:35]
	v_fmac_f64_e32 v[2:3], s[2:3], v[24:25]
	v_fmac_f64_e32 v[30:31], s[10:11], v[26:27]
	v_fmac_f64_e32 v[2:3], s[10:11], v[26:27]
	v_add_f64 v[26:27], v[12:13], v[16:17]
	v_fma_f64 v[34:35], -0.5, v[26:27], v[4:5]
	s_waitcnt lgkmcnt(0)
	v_add_f64 v[26:27], v[10:11], -v[22:23]
	v_add_f64 v[28:29], v[28:29], v[36:37]
	v_add_f64 v[32:33], v[32:33], v[38:39]
	v_fma_f64 v[38:39], s[16:17], v[26:27], v[34:35]
	v_add_f64 v[36:37], v[14:15], -v[18:19]
	v_add_f64 v[40:41], v[8:9], -v[12:13]
	;; [unrolled: 1-line block ×3, first 2 shown]
	v_fmac_f64_e32 v[34:35], s[18:19], v[26:27]
	v_fmac_f64_e32 v[38:39], s[2:3], v[36:37]
	v_add_f64 v[40:41], v[40:41], v[42:43]
	v_fmac_f64_e32 v[34:35], s[8:9], v[36:37]
	v_fmac_f64_e32 v[38:39], s[10:11], v[40:41]
	;; [unrolled: 1-line block ×3, first 2 shown]
	v_add_f64 v[40:41], v[8:9], v[20:21]
	v_add_f64 v[24:25], v[4:5], v[8:9]
	v_fmac_f64_e32 v[4:5], -0.5, v[40:41]
	v_fma_f64 v[42:43], s[18:19], v[36:37], v[4:5]
	v_add_f64 v[40:41], v[12:13], -v[8:9]
	v_add_f64 v[44:45], v[16:17], -v[20:21]
	v_fmac_f64_e32 v[4:5], s[16:17], v[36:37]
	v_fmac_f64_e32 v[42:43], s[2:3], v[26:27]
	v_add_f64 v[40:41], v[40:41], v[44:45]
	v_fmac_f64_e32 v[4:5], s[8:9], v[26:27]
	v_add_f64 v[26:27], v[14:15], v[18:19]
	v_fmac_f64_e32 v[42:43], s[10:11], v[40:41]
	v_fmac_f64_e32 v[4:5], s[10:11], v[40:41]
	v_fma_f64 v[46:47], -0.5, v[26:27], v[6:7]
	v_add_f64 v[8:9], v[8:9], -v[20:21]
	v_add_f64 v[36:37], v[10:11], -v[14:15]
	;; [unrolled: 1-line block ×3, first 2 shown]
	v_fma_f64 v[26:27], s[18:19], v[8:9], v[46:47]
	v_add_f64 v[36:37], v[36:37], v[40:41]
	v_add_f64 v[40:41], v[12:13], -v[16:17]
	v_fmac_f64_e32 v[46:47], s[16:17], v[8:9]
	v_fmac_f64_e32 v[26:27], s[8:9], v[40:41]
	v_fmac_f64_e32 v[46:47], s[2:3], v[40:41]
	v_fmac_f64_e32 v[26:27], s[10:11], v[36:37]
	v_fmac_f64_e32 v[46:47], s[10:11], v[36:37]
	v_add_f64 v[36:37], v[6:7], v[10:11]
	v_add_f64 v[12:13], v[24:25], v[12:13]
	;; [unrolled: 1-line block ×5, first 2 shown]
	v_fmac_f64_e32 v[6:7], -0.5, v[44:45]
	v_add_f64 v[16:17], v[16:17], v[18:19]
	v_add_f64 v[44:45], v[16:17], v[22:23]
	v_add_f64 v[10:11], v[14:15], -v[10:11]
	v_fma_f64 v[14:15], s[16:17], v[40:41], v[6:7]
	v_add_f64 v[16:17], v[18:19], -v[22:23]
	v_fmac_f64_e32 v[6:7], s[18:19], v[40:41]
	v_add_f64 v[10:11], v[10:11], v[16:17]
	v_fmac_f64_e32 v[6:7], s[2:3], v[8:9]
	v_fmac_f64_e32 v[6:7], s[10:11], v[10:11]
	v_mul_f64 v[16:17], v[4:5], s[10:11]
	s_load_dwordx2 s[6:7], s[0:1], 0x8
	v_fmac_f64_e32 v[14:15], s[8:9], v[8:9]
	s_mov_b32 s20, 0x9b97f4a8
	v_fma_f64 v[56:57], v[6:7], s[16:17], -v[16:17]
	v_mul_f64 v[6:7], v[6:7], s[10:11]
	v_add_f64 v[12:13], v[12:13], v[20:21]
	v_fmac_f64_e32 v[14:15], s[10:11], v[10:11]
	s_mov_b32 s21, 0x3fe9e377
	v_fma_f64 v[4:5], v[4:5], s[18:19], -v[6:7]
	v_mul_f64 v[6:7], v[42:43], s[18:19]
	v_add_f64 v[20:21], v[28:29], v[12:13]
	v_mul_f64 v[8:9], v[38:39], s[20:21]
	v_mul_f64 v[10:11], v[14:15], s[16:17]
	;; [unrolled: 1-line block ×3, first 2 shown]
	v_fmac_f64_e32 v[6:7], s[10:11], v[14:15]
	v_mul_f64 v[14:15], v[34:35], s[20:21]
	v_add_f64 v[16:17], v[28:29], -v[12:13]
	v_mul_f64 v[12:13], v[46:47], s[20:21]
	v_fmac_f64_e32 v[8:9], s[2:3], v[26:27]
	v_fmac_f64_e32 v[10:11], s[10:11], v[42:43]
	;; [unrolled: 1-line block ×3, first 2 shown]
	v_fma_f64 v[14:15], v[46:47], s[2:3], -v[14:15]
	v_fma_f64 v[12:13], v[34:35], s[8:9], -v[12:13]
	v_add_f64 v[24:25], v[50:51], v[8:9]
	v_add_f64 v[36:37], v[54:55], v[10:11]
	;; [unrolled: 1-line block ×4, first 2 shown]
	v_add_f64 v[18:19], v[32:33], -v[44:45]
	v_add_f64 v[44:45], v[48:49], v[14:15]
	v_add_f64 v[26:27], v[58:59], v[62:63]
	;; [unrolled: 1-line block ×5, first 2 shown]
	v_add_f64 v[52:53], v[50:51], -v[8:9]
	v_add_f64 v[28:29], v[54:55], -v[10:11]
	;; [unrolled: 1-line block ×8, first 2 shown]
	v_mul_lo_u16_e32 v105, 10, v83
	s_waitcnt lgkmcnt(0)
	s_barrier
	s_and_saveexec_b64 s[2:3], s[4:5]
	s_cbranch_execz .LBB0_7
; %bb.6:
	v_lshlrev_b32_e32 v0, 4, v105
	ds_write_b128 v0, v[20:23]
	ds_write_b128 v0, v[24:27] offset:16
	ds_write_b128 v0, v[36:39] offset:32
	;; [unrolled: 1-line block ×9, first 2 shown]
.LBB0_7:
	s_or_b64 exec, exec, s[2:3]
	s_load_dwordx2 s[0:1], s[0:1], 0x20
	s_movk_i32 s2, 0x96
	v_cmp_gt_u16_e64 s[2:3], s2, v83
	s_waitcnt lgkmcnt(0)
	s_barrier
	s_and_saveexec_b64 s[8:9], s[2:3]
	s_cbranch_execz .LBB0_9
; %bb.8:
	ds_read_b128 v[20:23], v80
	ds_read_b128 v[24:27], v80 offset:2400
	ds_read_b128 v[36:39], v80 offset:4800
	;; [unrolled: 1-line block ×4, first 2 shown]
.LBB0_9:
	s_or_b64 exec, exec, s[8:9]
	s_movk_i32 s8, 0xcd
	v_mul_lo_u16_sdwa v0, v83, s8 dst_sel:DWORD dst_unused:UNUSED_PAD src0_sel:BYTE_0 src1_sel:DWORD
	v_lshrrev_b16_e32 v81, 11, v0
	v_mul_lo_u16_e32 v0, 10, v81
	v_sub_u16_e32 v0, v83, v0
	v_and_b32_e32 v104, 0xff, v0
	v_lshlrev_b32_e32 v48, 6, v104
	global_load_dwordx4 v[12:15], v48, s[6:7]
	global_load_dwordx4 v[8:11], v48, s[6:7] offset:16
	global_load_dwordx4 v[4:7], v48, s[6:7] offset:32
	global_load_dwordx4 v[0:3], v48, s[6:7] offset:48
	s_mov_b32 s8, 0x134454ff
	s_mov_b32 s9, 0x3fee6f0e
	;; [unrolled: 1-line block ×9, first 2 shown]
	v_mul_u32_u24_e32 v106, 50, v81
	s_waitcnt lgkmcnt(0)
	s_barrier
	s_waitcnt vmcnt(3)
	v_mul_f64 v[64:65], v[26:27], v[14:15]
	v_mul_f64 v[48:49], v[24:25], v[14:15]
	s_waitcnt vmcnt(2)
	v_mul_f64 v[66:67], v[38:39], v[10:11]
	v_mul_f64 v[50:51], v[36:37], v[10:11]
	;; [unrolled: 3-line block ×4, first 2 shown]
	v_fma_f64 v[24:25], v[24:25], v[12:13], -v[64:65]
	v_fmac_f64_e32 v[48:49], v[26:27], v[12:13]
	v_fma_f64 v[26:27], v[36:37], v[8:9], -v[66:67]
	v_fmac_f64_e32 v[50:51], v[38:39], v[8:9]
	;; [unrolled: 2-line block ×4, first 2 shown]
	v_add_f64 v[40:41], v[26:27], v[36:37]
	v_add_f64 v[46:47], v[24:25], -v[26:27]
	v_add_f64 v[64:65], v[38:39], -v[36:37]
	v_add_f64 v[66:67], v[24:25], v[38:39]
	v_add_f64 v[72:73], v[50:51], v[60:61]
	v_add_f64 v[76:77], v[48:49], -v[50:51]
	v_add_f64 v[78:79], v[62:63], -v[60:61]
	;; [unrolled: 1-line block ×4, first 2 shown]
	v_add_f64 v[94:95], v[48:49], v[62:63]
	v_add_f64 v[42:43], v[48:49], -v[62:63]
	v_add_f64 v[68:69], v[26:27], -v[24:25]
	;; [unrolled: 1-line block ×6, first 2 shown]
	v_add_f64 v[90:91], v[46:47], v[64:65]
	v_add_f64 v[78:79], v[76:77], v[78:79]
	;; [unrolled: 1-line block ×3, first 2 shown]
	v_fma_f64 v[40:41], -0.5, v[40:41], v[20:21]
	v_fma_f64 v[46:47], -0.5, v[66:67], v[20:21]
	;; [unrolled: 1-line block ×4, first 2 shown]
	v_add_f64 v[88:89], v[68:69], v[70:71]
	v_fma_f64 v[68:69], s[18:19], v[42:43], v[40:41]
	v_fma_f64 v[70:71], s[8:9], v[44:45], v[72:73]
	;; [unrolled: 1-line block ×4, first 2 shown]
	v_fmac_f64_e32 v[68:69], s[20:21], v[86:87]
	v_fmac_f64_e32 v[64:65], s[20:21], v[42:43]
	;; [unrolled: 1-line block ×8, first 2 shown]
	s_and_saveexec_b64 s[18:19], s[2:3]
	s_cbranch_execz .LBB0_11
; %bb.10:
	v_add_f64 v[22:23], v[22:23], v[48:49]
	v_add_f64 v[20:21], v[20:21], v[24:25]
	v_mul_f64 v[92:93], v[42:43], s[8:9]
	v_mul_f64 v[94:95], v[86:87], s[10:11]
	;; [unrolled: 1-line block ×6, first 2 shown]
	v_add_f64 v[22:23], v[22:23], v[50:51]
	v_add_f64 v[20:21], v[20:21], v[26:27]
	v_mul_f64 v[42:43], v[42:43], s[10:11]
	v_mul_f64 v[44:45], v[44:45], s[10:11]
	v_add_f64 v[74:75], v[74:75], v[84:85]
	v_add_f64 v[72:73], v[72:73], -v[96:97]
	v_add_f64 v[22:23], v[22:23], v[60:61]
	v_add_f64 v[46:47], v[46:47], -v[86:87]
	v_add_f64 v[40:41], v[40:41], v[92:93]
	v_add_f64 v[20:21], v[20:21], v[36:37]
	v_mul_f64 v[90:91], v[90:91], s[16:17]
	v_mul_f64 v[88:89], v[88:89], s[16:17]
	;; [unrolled: 1-line block ×4, first 2 shown]
	v_add_f64 v[44:45], v[74:75], -v[44:45]
	v_add_f64 v[72:73], v[72:73], -v[98:99]
	v_add_f64 v[22:23], v[22:23], v[62:63]
	v_add_f64 v[42:43], v[42:43], v[46:47]
	;; [unrolled: 1-line block ×4, first 2 shown]
	v_add_lshl_u32 v24, v106, v104, 4
	v_add_f64 v[44:45], v[76:77], v[44:45]
	v_add_f64 v[74:75], v[78:79], v[72:73]
	;; [unrolled: 1-line block ×4, first 2 shown]
	ds_write_b128 v24, v[20:23]
	ds_write_b128 v24, v[72:75] offset:160
	ds_write_b128 v24, v[42:45] offset:320
	ds_write_b128 v24, v[64:67] offset:480
	ds_write_b128 v24, v[68:71] offset:640
.LBB0_11:
	s_or_b64 exec, exec, s[18:19]
	v_mov_b32_e32 v20, 41
	v_mul_lo_u16_sdwa v20, v83, v20 dst_sel:DWORD dst_unused:UNUSED_PAD src0_sel:BYTE_0 src1_sel:DWORD
	v_lshrrev_b16_e32 v44, 11, v20
	v_mul_lo_u16_e32 v20, 50, v44
	v_sub_u16_e32 v20, v83, v20
	v_and_b32_e32 v45, 0xff, v20
	v_lshlrev_b32_e32 v36, 5, v45
	s_load_dwordx4 s[8:11], s[0:1], 0x0
	s_waitcnt lgkmcnt(0)
	s_barrier
	global_load_dwordx4 v[24:27], v36, s[6:7] offset:640
	global_load_dwordx4 v[20:23], v36, s[6:7] offset:656
	ds_read_b128 v[72:75], v80
	ds_read_b128 v[36:39], v80 offset:4000
	ds_read_b128 v[40:43], v80 offset:8000
	v_mul_u32_u24_e32 v44, 0x96, v44
	v_add_lshl_u32 v107, v44, v45, 4
	s_mov_b32 s0, 0xe8584caa
	s_mov_b32 s1, 0x3febb67a
	;; [unrolled: 1-line block ×4, first 2 shown]
	s_waitcnt lgkmcnt(0)
	s_barrier
	s_waitcnt vmcnt(1)
	v_mul_f64 v[44:45], v[38:39], v[26:27]
	v_mul_f64 v[46:47], v[36:37], v[26:27]
	s_waitcnt vmcnt(0)
	v_mul_f64 v[48:49], v[42:43], v[22:23]
	v_mul_f64 v[50:51], v[40:41], v[22:23]
	v_fma_f64 v[36:37], v[36:37], v[24:25], -v[44:45]
	v_fmac_f64_e32 v[46:47], v[38:39], v[24:25]
	v_fma_f64 v[38:39], v[40:41], v[20:21], -v[48:49]
	v_fmac_f64_e32 v[50:51], v[42:43], v[20:21]
	v_add_f64 v[42:43], v[36:37], v[38:39]
	v_add_f64 v[44:45], v[46:47], -v[50:51]
	v_add_f64 v[48:49], v[74:75], v[46:47]
	v_add_f64 v[46:47], v[46:47], v[50:51]
	;; [unrolled: 1-line block ×3, first 2 shown]
	v_add_f64 v[36:37], v[36:37], -v[38:39]
	v_fmac_f64_e32 v[72:73], -0.5, v[42:43]
	v_fmac_f64_e32 v[74:75], -0.5, v[46:47]
	v_add_f64 v[60:61], v[40:41], v[38:39]
	v_add_f64 v[62:63], v[48:49], v[50:51]
	v_fma_f64 v[76:77], s[0:1], v[44:45], v[72:73]
	v_fmac_f64_e32 v[72:73], s[16:17], v[44:45]
	v_fma_f64 v[78:79], s[16:17], v[36:37], v[74:75]
	v_fmac_f64_e32 v[74:75], s[0:1], v[36:37]
	ds_write_b128 v107, v[60:63]
	ds_write_b128 v107, v[76:79] offset:800
	ds_write_b128 v107, v[72:75] offset:1600
	s_waitcnt lgkmcnt(0)
	s_barrier
	s_and_saveexec_b64 s[0:1], s[2:3]
	s_cbranch_execz .LBB0_13
; %bb.12:
	ds_read_b128 v[60:63], v80
	ds_read_b128 v[76:79], v80 offset:2400
	ds_read_b128 v[72:75], v80 offset:4800
	;; [unrolled: 1-line block ×4, first 2 shown]
.LBB0_13:
	s_or_b64 exec, exec, s[0:1]
	s_movk_i32 s0, 0xfda8
	v_lshlrev_b32_e32 v36, 2, v83
	v_mov_b32_e32 v37, 0
	s_mov_b32 s1, -1
	v_lshl_add_u64 v[38:39], v[36:37], 0, s[0:1]
	v_cndmask_b32_e64 v37, v39, 0, s[2:3]
	v_cndmask_b32_e64 v36, v38, v36, s[2:3]
	v_lshl_add_u64 v[84:85], v[36:37], 4, s[6:7]
	global_load_dwordx4 v[40:43], v[84:85], off offset:2240
	global_load_dwordx4 v[48:51], v[84:85], off offset:2256
	;; [unrolled: 1-line block ×4, first 2 shown]
	s_mov_b32 s16, 0x134454ff
	s_mov_b32 s17, 0x3fee6f0e
	;; [unrolled: 1-line block ×9, first 2 shown]
	s_waitcnt vmcnt(3) lgkmcnt(3)
	v_mul_f64 v[84:85], v[78:79], v[42:43]
	v_mul_f64 v[86:87], v[76:77], v[42:43]
	s_waitcnt vmcnt(2) lgkmcnt(2)
	v_mul_f64 v[88:89], v[74:75], v[50:51]
	v_mul_f64 v[90:91], v[72:73], v[50:51]
	;; [unrolled: 3-line block ×4, first 2 shown]
	v_fma_f64 v[76:77], v[76:77], v[40:41], -v[84:85]
	v_fmac_f64_e32 v[86:87], v[78:79], v[40:41]
	v_fma_f64 v[72:73], v[72:73], v[48:49], -v[88:89]
	v_fmac_f64_e32 v[90:91], v[74:75], v[48:49]
	;; [unrolled: 2-line block ×4, first 2 shown]
	v_add_f64 v[68:69], v[60:61], v[76:77]
	v_add_f64 v[70:71], v[72:73], v[64:65]
	v_add_f64 v[74:75], v[76:77], -v[72:73]
	v_add_f64 v[78:79], v[66:67], -v[64:65]
	v_add_f64 v[92:93], v[76:77], v[66:67]
	v_add_f64 v[102:103], v[62:63], v[86:87]
	;; [unrolled: 1-line block ×4, first 2 shown]
	v_add_f64 v[84:85], v[86:87], -v[98:99]
	v_add_f64 v[88:89], v[90:91], -v[94:95]
	;; [unrolled: 1-line block ×5, first 2 shown]
	v_add_f64 v[68:69], v[68:69], v[72:73]
	v_fma_f64 v[76:77], -0.5, v[70:71], v[60:61]
	v_add_f64 v[122:123], v[74:75], v[78:79]
	v_fmac_f64_e32 v[60:61], -0.5, v[92:93]
	v_add_f64 v[70:71], v[102:103], v[90:91]
	v_fma_f64 v[78:79], -0.5, v[108:109], v[62:63]
	v_fmac_f64_e32 v[62:63], -0.5, v[118:119]
	v_add_f64 v[100:101], v[64:65], -v[66:67]
	v_add_f64 v[114:115], v[86:87], -v[90:91]
	;; [unrolled: 1-line block ×5, first 2 shown]
	v_add_f64 v[64:65], v[68:69], v[64:65]
	v_fma_f64 v[68:69], s[16:17], v[84:85], v[76:77]
	v_fmac_f64_e32 v[76:77], s[18:19], v[84:85]
	v_fma_f64 v[72:73], s[18:19], v[88:89], v[60:61]
	v_fmac_f64_e32 v[60:61], s[16:17], v[88:89]
	v_add_f64 v[94:95], v[70:71], v[94:95]
	v_fma_f64 v[70:71], s[18:19], v[110:111], v[78:79]
	v_fmac_f64_e32 v[78:79], s[16:17], v[110:111]
	v_fma_f64 v[74:75], s[16:17], v[112:113], v[62:63]
	v_fmac_f64_e32 v[62:63], s[18:19], v[112:113]
	v_add_f64 v[92:93], v[96:97], v[100:101]
	v_add_f64 v[90:91], v[114:115], v[116:117]
	;; [unrolled: 1-line block ×3, first 2 shown]
	v_fmac_f64_e32 v[68:69], s[0:1], v[88:89]
	v_fmac_f64_e32 v[76:77], s[20:21], v[88:89]
	;; [unrolled: 1-line block ×8, first 2 shown]
	v_add_f64 v[64:65], v[64:65], v[66:67]
	v_add_f64 v[66:67], v[94:95], v[98:99]
	v_fmac_f64_e32 v[68:69], s[6:7], v[122:123]
	v_fmac_f64_e32 v[76:77], s[6:7], v[122:123]
	;; [unrolled: 1-line block ×8, first 2 shown]
	s_and_saveexec_b64 s[0:1], s[2:3]
	s_cbranch_execz .LBB0_15
; %bb.14:
	ds_write_b128 v80, v[64:67]
	ds_write_b128 v80, v[68:71] offset:2400
	ds_write_b128 v80, v[72:75] offset:4800
	ds_write_b128 v80, v[60:63] offset:7200
	ds_write_b128 v80, v[76:79] offset:9600
.LBB0_15:
	s_or_b64 exec, exec, s[0:1]
	s_waitcnt lgkmcnt(0)
	s_barrier
	s_and_saveexec_b64 s[0:1], s[4:5]
	s_cbranch_execz .LBB0_17
; %bb.16:
	v_mov_b32_e32 v81, 0
	v_lshl_add_u64 v[84:85], s[14:15], 0, v[80:81]
	v_add_co_u32_e32 v90, vcc, 0x2000, v84
	ds_read_b128 v[86:89], v80
	s_nop 0
	v_addc_co_u32_e32 v91, vcc, 0, v85, vcc
	global_load_dwordx4 v[90:93], v[90:91], off offset:3808
	s_mov_b64 s[6:7], 0x2ee0
	v_lshl_add_u64 v[98:99], v[84:85], 0, s[6:7]
	s_movk_i32 s6, 0x4000
	s_waitcnt vmcnt(0) lgkmcnt(0)
	v_mul_f64 v[94:95], v[88:89], v[92:93]
	v_mul_f64 v[96:97], v[86:87], v[92:93]
	v_fma_f64 v[94:95], v[86:87], v[90:91], -v[94:95]
	v_fmac_f64_e32 v[96:97], v[88:89], v[90:91]
	global_load_dwordx4 v[90:93], v[98:99], off offset:1200
	ds_read_b128 v[86:89], v80 offset:1200
	ds_write_b128 v80, v[94:97]
	s_waitcnt vmcnt(0) lgkmcnt(1)
	v_mul_f64 v[94:95], v[88:89], v[92:93]
	v_mul_f64 v[96:97], v[86:87], v[92:93]
	v_fma_f64 v[94:95], v[86:87], v[90:91], -v[94:95]
	v_fmac_f64_e32 v[96:97], v[88:89], v[90:91]
	global_load_dwordx4 v[90:93], v[98:99], off offset:2400
	ds_read_b128 v[86:89], v80 offset:2400
	ds_write_b128 v80, v[94:97] offset:1200
	s_waitcnt vmcnt(0) lgkmcnt(1)
	v_mul_f64 v[94:95], v[88:89], v[92:93]
	v_mul_f64 v[96:97], v[86:87], v[92:93]
	v_fma_f64 v[94:95], v[86:87], v[90:91], -v[94:95]
	v_fmac_f64_e32 v[96:97], v[88:89], v[90:91]
	global_load_dwordx4 v[90:93], v[98:99], off offset:3600
	ds_read_b128 v[86:89], v80 offset:3600
	v_add_co_u32_e32 v98, vcc, s6, v84
	ds_write_b128 v80, v[94:97] offset:2400
	s_nop 0
	v_addc_co_u32_e32 v99, vcc, 0, v85, vcc
	s_movk_i32 s6, 0x5000
	s_waitcnt vmcnt(0) lgkmcnt(1)
	v_mul_f64 v[94:95], v[88:89], v[92:93]
	v_mul_f64 v[96:97], v[86:87], v[92:93]
	v_fma_f64 v[94:95], v[86:87], v[90:91], -v[94:95]
	v_fmac_f64_e32 v[96:97], v[88:89], v[90:91]
	global_load_dwordx4 v[90:93], v[98:99], off offset:416
	ds_read_b128 v[86:89], v80 offset:4800
	ds_write_b128 v80, v[94:97] offset:3600
	s_waitcnt vmcnt(0) lgkmcnt(1)
	v_mul_f64 v[94:95], v[88:89], v[92:93]
	v_mul_f64 v[96:97], v[86:87], v[92:93]
	v_fma_f64 v[94:95], v[86:87], v[90:91], -v[94:95]
	v_fmac_f64_e32 v[96:97], v[88:89], v[90:91]
	global_load_dwordx4 v[90:93], v[98:99], off offset:1616
	ds_read_b128 v[86:89], v80 offset:6000
	ds_write_b128 v80, v[94:97] offset:4800
	;; [unrolled: 8-line block ×4, first 2 shown]
	s_waitcnt vmcnt(0) lgkmcnt(1)
	v_mul_f64 v[94:95], v[88:89], v[92:93]
	v_mul_f64 v[96:97], v[86:87], v[92:93]
	v_fma_f64 v[94:95], v[86:87], v[90:91], -v[94:95]
	v_fmac_f64_e32 v[96:97], v[88:89], v[90:91]
	ds_write_b128 v80, v[94:97] offset:8400
	v_add_co_u32_e32 v94, vcc, s6, v84
	ds_read_b128 v[86:89], v80 offset:9600
	s_nop 0
	v_addc_co_u32_e32 v95, vcc, 0, v85, vcc
	global_load_dwordx4 v[90:93], v[94:95], off offset:1120
	s_waitcnt vmcnt(0) lgkmcnt(0)
	v_mul_f64 v[84:85], v[88:89], v[92:93]
	v_fma_f64 v[84:85], v[86:87], v[90:91], -v[84:85]
	v_mul_f64 v[86:87], v[86:87], v[92:93]
	v_fmac_f64_e32 v[86:87], v[88:89], v[90:91]
	global_load_dwordx4 v[88:91], v[94:95], off offset:2320
	ds_write_b128 v80, v[84:87] offset:9600
	ds_read_b128 v[84:87], v80 offset:10800
	s_waitcnt vmcnt(0) lgkmcnt(0)
	v_mul_f64 v[92:93], v[86:87], v[90:91]
	v_mul_f64 v[94:95], v[84:85], v[90:91]
	v_fma_f64 v[92:93], v[84:85], v[88:89], -v[92:93]
	v_fmac_f64_e32 v[94:95], v[86:87], v[88:89]
	ds_write_b128 v80, v[92:95] offset:10800
.LBB0_17:
	s_or_b64 exec, exec, s[0:1]
	s_waitcnt lgkmcnt(0)
	s_barrier
	s_and_saveexec_b64 s[0:1], s[4:5]
	s_cbranch_execz .LBB0_19
; %bb.18:
	ds_read_b128 v[64:67], v80
	ds_read_b128 v[68:71], v80 offset:1200
	ds_read_b128 v[72:75], v80 offset:2400
	ds_read_b128 v[60:63], v80 offset:3600
	ds_read_b128 v[76:79], v80 offset:4800
	ds_read_b128 v[16:19], v80 offset:6000
	ds_read_b128 v[52:55], v80 offset:7200
	ds_read_b128 v[28:31], v80 offset:8400
	ds_read_b128 v[56:59], v80 offset:9600
	ds_read_b128 v[32:35], v80 offset:10800
.LBB0_19:
	s_or_b64 exec, exec, s[0:1]
	s_waitcnt lgkmcnt(3)
	v_add_f64 v[86:87], v[76:77], v[52:53]
	s_mov_b32 s16, 0x134454ff
	v_fma_f64 v[88:89], -0.5, v[86:87], v[64:65]
	s_waitcnt lgkmcnt(1)
	v_add_f64 v[92:93], v[74:75], -v[58:59]
	s_mov_b32 s17, 0xbfee6f0e
	s_mov_b32 s18, 0x4755a5e
	;; [unrolled: 1-line block ×4, first 2 shown]
	v_fma_f64 v[86:87], s[16:17], v[92:93], v[88:89]
	v_add_f64 v[94:95], v[78:79], -v[54:55]
	s_mov_b32 s19, 0xbfe2cf23
	v_add_f64 v[90:91], v[72:73], -v[76:77]
	v_add_f64 v[96:97], v[56:57], -v[52:53]
	s_mov_b32 s0, 0x372fe950
	v_fmac_f64_e32 v[88:89], s[6:7], v[92:93]
	s_mov_b32 s21, 0x3fe2cf23
	s_mov_b32 s20, s18
	v_fmac_f64_e32 v[86:87], s[18:19], v[94:95]
	v_add_f64 v[90:91], v[90:91], v[96:97]
	s_mov_b32 s1, 0x3fd3c6ef
	v_fmac_f64_e32 v[88:89], s[20:21], v[94:95]
	v_add_f64 v[84:85], v[64:65], v[72:73]
	v_fmac_f64_e32 v[86:87], s[0:1], v[90:91]
	v_fmac_f64_e32 v[88:89], s[0:1], v[90:91]
	v_add_f64 v[90:91], v[72:73], v[56:57]
	v_add_f64 v[84:85], v[84:85], v[76:77]
	v_fmac_f64_e32 v[64:65], -0.5, v[90:91]
	v_add_f64 v[84:85], v[84:85], v[52:53]
	v_fma_f64 v[90:91], s[6:7], v[94:95], v[64:65]
	v_add_f64 v[96:97], v[76:77], -v[72:73]
	v_add_f64 v[98:99], v[52:53], -v[56:57]
	v_fmac_f64_e32 v[64:65], s[16:17], v[94:95]
	v_add_f64 v[94:95], v[78:79], v[54:55]
	v_add_f64 v[84:85], v[84:85], v[56:57]
	v_fmac_f64_e32 v[90:91], s[18:19], v[92:93]
	v_add_f64 v[96:97], v[96:97], v[98:99]
	v_fmac_f64_e32 v[64:65], s[20:21], v[92:93]
	v_fma_f64 v[94:95], -0.5, v[94:95], v[66:67]
	v_add_f64 v[56:57], v[72:73], -v[56:57]
	v_fmac_f64_e32 v[90:91], s[0:1], v[96:97]
	v_fmac_f64_e32 v[64:65], s[0:1], v[96:97]
	v_fma_f64 v[72:73], s[6:7], v[56:57], v[94:95]
	v_add_f64 v[52:53], v[76:77], -v[52:53]
	v_add_f64 v[76:77], v[74:75], -v[78:79]
	v_add_f64 v[96:97], v[58:59], -v[54:55]
	v_fmac_f64_e32 v[94:95], s[16:17], v[56:57]
	v_fmac_f64_e32 v[72:73], s[20:21], v[52:53]
	v_add_f64 v[76:77], v[76:77], v[96:97]
	v_fmac_f64_e32 v[94:95], s[18:19], v[52:53]
	v_fmac_f64_e32 v[72:73], s[0:1], v[76:77]
	;; [unrolled: 1-line block ×3, first 2 shown]
	v_add_f64 v[76:77], v[74:75], v[58:59]
	v_add_f64 v[92:93], v[66:67], v[74:75]
	v_fmac_f64_e32 v[66:67], -0.5, v[76:77]
	v_fma_f64 v[76:77], s[16:17], v[52:53], v[66:67]
	v_fmac_f64_e32 v[66:67], s[6:7], v[52:53]
	v_add_f64 v[52:53], v[68:69], v[60:61]
	v_add_f64 v[92:93], v[92:93], v[78:79]
	;; [unrolled: 1-line block ×4, first 2 shown]
	v_add_f64 v[74:75], v[78:79], -v[74:75]
	v_add_f64 v[54:55], v[54:55], -v[58:59]
	v_add_f64 v[52:53], v[52:53], v[28:29]
	v_add_f64 v[54:55], v[74:75], v[54:55]
	s_waitcnt lgkmcnt(0)
	v_add_f64 v[74:75], v[52:53], v[32:33]
	v_add_f64 v[52:53], v[16:17], v[28:29]
	;; [unrolled: 1-line block ×3, first 2 shown]
	v_fmac_f64_e32 v[76:77], s[20:21], v[56:57]
	v_fmac_f64_e32 v[66:67], s[18:19], v[56:57]
	v_fma_f64 v[58:59], -0.5, v[52:53], v[68:69]
	v_add_f64 v[52:53], v[62:63], -v[34:35]
	v_fmac_f64_e32 v[76:77], s[0:1], v[54:55]
	v_fmac_f64_e32 v[66:67], s[0:1], v[54:55]
	v_fma_f64 v[54:55], s[16:17], v[52:53], v[58:59]
	v_add_f64 v[56:57], v[18:19], -v[30:31]
	v_add_f64 v[78:79], v[60:61], -v[16:17]
	v_add_f64 v[96:97], v[32:33], -v[28:29]
	v_fmac_f64_e32 v[58:59], s[6:7], v[52:53]
	v_fmac_f64_e32 v[54:55], s[18:19], v[56:57]
	v_add_f64 v[78:79], v[78:79], v[96:97]
	v_fmac_f64_e32 v[58:59], s[20:21], v[56:57]
	v_fmac_f64_e32 v[54:55], s[0:1], v[78:79]
	;; [unrolled: 1-line block ×3, first 2 shown]
	v_add_f64 v[78:79], v[60:61], v[32:33]
	v_fmac_f64_e32 v[68:69], -0.5, v[78:79]
	v_fma_f64 v[108:109], s[6:7], v[56:57], v[68:69]
	v_fmac_f64_e32 v[68:69], s[16:17], v[56:57]
	v_fmac_f64_e32 v[108:109], s[18:19], v[52:53]
	;; [unrolled: 1-line block ×3, first 2 shown]
	v_add_f64 v[52:53], v[70:71], v[62:63]
	v_add_f64 v[78:79], v[16:17], -v[60:61]
	v_add_f64 v[96:97], v[28:29], -v[32:33]
	v_add_f64 v[52:53], v[52:53], v[18:19]
	v_add_f64 v[78:79], v[78:79], v[96:97]
	;; [unrolled: 1-line block ×3, first 2 shown]
	v_fmac_f64_e32 v[108:109], s[0:1], v[78:79]
	v_fmac_f64_e32 v[68:69], s[0:1], v[78:79]
	v_add_f64 v[78:79], v[52:53], v[34:35]
	v_add_f64 v[52:53], v[18:19], v[30:31]
	v_fma_f64 v[110:111], -0.5, v[52:53], v[70:71]
	v_add_f64 v[32:33], v[60:61], -v[32:33]
	v_fma_f64 v[102:103], s[6:7], v[32:33], v[110:111]
	v_add_f64 v[16:17], v[16:17], -v[28:29]
	v_add_f64 v[28:29], v[62:63], -v[18:19]
	;; [unrolled: 1-line block ×3, first 2 shown]
	v_fmac_f64_e32 v[110:111], s[16:17], v[32:33]
	v_fmac_f64_e32 v[102:103], s[20:21], v[16:17]
	v_add_f64 v[28:29], v[28:29], v[52:53]
	v_fmac_f64_e32 v[110:111], s[18:19], v[16:17]
	v_fmac_f64_e32 v[102:103], s[0:1], v[28:29]
	;; [unrolled: 1-line block ×3, first 2 shown]
	v_add_f64 v[28:29], v[62:63], v[34:35]
	v_fmac_f64_e32 v[70:71], -0.5, v[28:29]
	v_fma_f64 v[112:113], s[16:17], v[16:17], v[70:71]
	v_add_f64 v[18:19], v[18:19], -v[62:63]
	v_add_f64 v[28:29], v[30:31], -v[34:35]
	v_fmac_f64_e32 v[70:71], s[6:7], v[16:17]
	v_fmac_f64_e32 v[112:113], s[20:21], v[32:33]
	v_add_f64 v[18:19], v[18:19], v[28:29]
	v_fmac_f64_e32 v[70:71], s[18:19], v[32:33]
	v_fmac_f64_e32 v[112:113], s[0:1], v[18:19]
	;; [unrolled: 1-line block ×3, first 2 shown]
	s_mov_b32 s22, 0x9b97f4a8
	v_mul_f64 v[62:63], v[112:113], s[16:17]
	v_mul_f64 v[96:97], v[70:71], s[16:17]
	s_mov_b32 s17, 0xbfd3c6ef
	s_mov_b32 s16, s0
	v_mul_f64 v[60:61], v[102:103], s[18:19]
	s_mov_b32 s23, 0x3fe9e377
	v_mul_f64 v[98:99], v[110:111], s[18:19]
	s_mov_b32 s19, 0xbfe9e377
	s_mov_b32 s18, s22
	v_mul_f64 v[100:101], v[54:55], s[20:21]
	v_mul_f64 v[70:71], v[70:71], s[16:17]
	v_fmac_f64_e32 v[96:97], s[16:17], v[68:69]
	v_fmac_f64_e32 v[100:101], s[22:23], v[102:103]
	v_mul_f64 v[102:103], v[112:113], s[0:1]
	v_fmac_f64_e32 v[70:71], s[6:7], v[68:69]
	v_mul_f64 v[68:69], v[110:111], s[18:19]
	v_fmac_f64_e32 v[60:61], s[22:23], v[54:55]
	v_fmac_f64_e32 v[62:63], s[0:1], v[108:109]
	;; [unrolled: 1-line block ×5, first 2 shown]
	v_add_f64 v[16:17], v[84:85], v[74:75]
	v_add_f64 v[28:29], v[86:87], v[60:61]
	;; [unrolled: 1-line block ×10, first 2 shown]
	s_barrier
	s_and_saveexec_b64 s[0:1], s[4:5]
	s_cbranch_execz .LBB0_21
; %bb.20:
	v_add_f64 v[68:69], v[94:95], -v[68:69]
	v_add_f64 v[94:95], v[66:67], -v[70:71]
	;; [unrolled: 1-line block ×3, first 2 shown]
	v_lshlrev_b32_e32 v60, 4, v105
	v_add_f64 v[102:103], v[76:77], -v[102:103]
	v_add_f64 v[72:73], v[72:73], -v[100:101]
	;; [unrolled: 1-line block ×7, first 2 shown]
	ds_write_b128 v60, v[16:19]
	ds_write_b128 v60, v[28:31] offset:16
	ds_write_b128 v60, v[32:35] offset:32
	;; [unrolled: 1-line block ×9, first 2 shown]
.LBB0_21:
	s_or_b64 exec, exec, s[0:1]
	s_waitcnt lgkmcnt(0)
	s_barrier
	s_and_saveexec_b64 s[0:1], s[2:3]
	s_cbranch_execz .LBB0_23
; %bb.22:
	ds_read_b128 v[16:19], v80
	ds_read_b128 v[28:31], v80 offset:2400
	ds_read_b128 v[32:35], v80 offset:4800
	;; [unrolled: 1-line block ×4, first 2 shown]
.LBB0_23:
	s_or_b64 exec, exec, s[0:1]
	s_waitcnt lgkmcnt(3)
	v_mul_f64 v[60:61], v[14:15], v[30:31]
	v_mul_f64 v[14:15], v[14:15], v[28:29]
	v_fmac_f64_e32 v[60:61], v[12:13], v[28:29]
	v_fma_f64 v[14:15], v[12:13], v[30:31], -v[14:15]
	s_waitcnt lgkmcnt(2)
	v_mul_f64 v[12:13], v[10:11], v[34:35]
	v_mul_f64 v[10:11], v[10:11], v[32:33]
	v_fmac_f64_e32 v[12:13], v[8:9], v[32:33]
	v_fma_f64 v[28:29], v[8:9], v[34:35], -v[10:11]
	s_waitcnt lgkmcnt(1)
	v_mul_f64 v[8:9], v[6:7], v[54:55]
	v_fmac_f64_e32 v[8:9], v[4:5], v[52:53]
	s_waitcnt lgkmcnt(0)
	v_mul_f64 v[10:11], v[2:3], v[58:59]
	v_mul_f64 v[2:3], v[2:3], v[56:57]
	v_fmac_f64_e32 v[10:11], v[0:1], v[56:57]
	v_fma_f64 v[34:35], v[0:1], v[58:59], -v[2:3]
	v_add_f64 v[0:1], v[12:13], v[8:9]
	v_fma_f64 v[30:31], -0.5, v[0:1], v[16:17]
	v_add_f64 v[0:1], v[60:61], -v[12:13]
	v_add_f64 v[2:3], v[10:11], -v[8:9]
	v_mul_f64 v[6:7], v[6:7], v[52:53]
	v_add_f64 v[58:59], v[0:1], v[2:3]
	v_add_f64 v[2:3], v[60:61], v[10:11]
	v_fma_f64 v[32:33], v[4:5], v[54:55], -v[6:7]
	v_fma_f64 v[54:55], -0.5, v[2:3], v[16:17]
	v_add_f64 v[2:3], v[12:13], -v[60:61]
	v_add_f64 v[4:5], v[8:9], -v[10:11]
	v_add_f64 v[64:65], v[2:3], v[4:5]
	v_add_f64 v[2:3], v[28:29], v[32:33]
	v_fma_f64 v[62:63], -0.5, v[2:3], v[18:19]
	v_add_f64 v[2:3], v[14:15], -v[28:29]
	v_add_f64 v[6:7], v[34:35], -v[32:33]
	s_mov_b32 s6, 0x134454ff
	v_add_f64 v[70:71], v[2:3], v[6:7]
	v_add_f64 v[6:7], v[14:15], v[34:35]
	v_add_f64 v[52:53], v[14:15], -v[34:35]
	s_mov_b32 s7, 0x3fee6f0e
	v_add_f64 v[56:57], v[28:29], -v[32:33]
	s_mov_b32 s16, 0x4755a5e
	s_mov_b32 s1, 0xbfee6f0e
	;; [unrolled: 1-line block ×3, first 2 shown]
	v_add_f64 v[66:67], v[60:61], -v[10:11]
	v_add_f64 v[68:69], v[12:13], -v[8:9]
	v_fma_f64 v[72:73], -0.5, v[6:7], v[18:19]
	v_add_f64 v[6:7], v[28:29], -v[14:15]
	v_add_f64 v[74:75], v[32:33], -v[34:35]
	s_mov_b32 s17, 0x3fe2cf23
	s_mov_b32 s18, 0x372fe950
	v_fma_f64 v[0:1], s[6:7], v[52:53], v[30:31]
	v_fma_f64 v[4:5], s[0:1], v[56:57], v[54:55]
	;; [unrolled: 1-line block ×3, first 2 shown]
	s_mov_b32 s1, 0xbfe2cf23
	s_mov_b32 s0, s16
	v_add_f64 v[74:75], v[6:7], v[74:75]
	v_fma_f64 v[6:7], s[6:7], v[68:69], v[72:73]
	s_mov_b32 s19, 0x3fd3c6ef
	v_fmac_f64_e32 v[0:1], s[16:17], v[56:57]
	v_fmac_f64_e32 v[4:5], s[16:17], v[52:53]
	;; [unrolled: 1-line block ×8, first 2 shown]
	s_barrier
	s_and_saveexec_b64 s[0:1], s[2:3]
	s_cbranch_execz .LBB0_25
; %bb.24:
	v_mul_f64 v[84:85], v[56:57], s[6:7]
	v_mul_f64 v[76:77], v[52:53], s[6:7]
	;; [unrolled: 1-line block ×3, first 2 shown]
	v_add_f64 v[14:15], v[18:19], v[14:15]
	v_add_f64 v[18:19], v[84:85], v[54:55]
	;; [unrolled: 1-line block ×3, first 2 shown]
	v_mul_f64 v[78:79], v[56:57], s[16:17]
	v_mul_f64 v[86:87], v[64:65], s[18:19]
	;; [unrolled: 1-line block ×4, first 2 shown]
	v_add_f64 v[14:15], v[14:15], v[28:29]
	v_add_f64 v[18:19], v[18:19], -v[52:53]
	v_add_f64 v[12:13], v[16:17], v[12:13]
	v_mul_f64 v[88:89], v[68:69], s[16:17]
	v_mul_f64 v[66:67], v[66:67], s[16:17]
	v_add_f64 v[56:57], v[72:73], -v[56:57]
	v_add_f64 v[62:63], v[62:63], v[64:65]
	v_add_f64 v[14:15], v[14:15], v[32:33]
	;; [unrolled: 1-line block ×3, first 2 shown]
	v_add_f64 v[18:19], v[30:31], -v[76:77]
	v_add_f64 v[8:9], v[12:13], v[8:9]
	v_mul_f64 v[58:59], v[58:59], s[18:19]
	v_mul_f64 v[70:71], v[70:71], s[18:19]
	;; [unrolled: 1-line block ×3, first 2 shown]
	v_add_f64 v[56:57], v[66:67], v[56:57]
	v_add_f64 v[62:63], v[88:89], v[62:63]
	;; [unrolled: 1-line block ×3, first 2 shown]
	v_add_f64 v[18:19], v[18:19], -v[78:79]
	v_add_f64 v[12:13], v[8:9], v[10:11]
	v_add_lshl_u32 v8, v106, v104, 4
	v_add_f64 v[56:57], v[68:69], v[56:57]
	v_add_f64 v[64:65], v[70:71], v[62:63]
	;; [unrolled: 1-line block ×3, first 2 shown]
	ds_write_b128 v8, v[12:15]
	ds_write_b128 v8, v[62:65] offset:160
	ds_write_b128 v8, v[54:57] offset:320
	;; [unrolled: 1-line block ×4, first 2 shown]
.LBB0_25:
	s_or_b64 exec, exec, s[0:1]
	s_waitcnt lgkmcnt(0)
	s_barrier
	ds_read_b128 v[8:11], v80 offset:4000
	ds_read_b128 v[12:15], v80
	ds_read_b128 v[16:19], v80 offset:8000
	s_mov_b32 s0, 0xe8584caa
	s_mov_b32 s1, 0xbfebb67a
	s_waitcnt lgkmcnt(2)
	v_mul_f64 v[28:29], v[26:27], v[10:11]
	v_fmac_f64_e32 v[28:29], v[24:25], v[8:9]
	v_mul_f64 v[8:9], v[26:27], v[8:9]
	s_waitcnt lgkmcnt(0)
	v_mul_f64 v[26:27], v[22:23], v[18:19]
	v_fma_f64 v[24:25], v[24:25], v[10:11], -v[8:9]
	v_fmac_f64_e32 v[26:27], v[20:21], v[16:17]
	v_mul_f64 v[8:9], v[22:23], v[16:17]
	v_fma_f64 v[18:19], v[20:21], v[18:19], -v[8:9]
	v_add_f64 v[10:11], v[28:29], v[26:27]
	v_add_f64 v[8:9], v[12:13], v[28:29]
	v_fmac_f64_e32 v[12:13], -0.5, v[10:11]
	v_add_f64 v[10:11], v[24:25], -v[18:19]
	s_mov_b32 s7, 0x3febb67a
	s_mov_b32 s6, s0
	v_fma_f64 v[16:17], s[0:1], v[10:11], v[12:13]
	v_fmac_f64_e32 v[12:13], s[6:7], v[10:11]
	v_add_f64 v[10:11], v[14:15], v[24:25]
	v_add_f64 v[10:11], v[10:11], v[18:19]
	;; [unrolled: 1-line block ×3, first 2 shown]
	v_fmac_f64_e32 v[14:15], -0.5, v[18:19]
	v_add_f64 v[20:21], v[28:29], -v[26:27]
	v_add_f64 v[8:9], v[8:9], v[26:27]
	v_fma_f64 v[18:19], s[6:7], v[20:21], v[14:15]
	v_fmac_f64_e32 v[14:15], s[0:1], v[20:21]
	s_barrier
	ds_write_b128 v107, v[8:11]
	ds_write_b128 v107, v[16:19] offset:800
	ds_write_b128 v107, v[12:15] offset:1600
	s_waitcnt lgkmcnt(0)
	s_barrier
	s_and_saveexec_b64 s[0:1], s[2:3]
	s_cbranch_execz .LBB0_27
; %bb.26:
	ds_read_b128 v[8:11], v80
	ds_read_b128 v[16:19], v80 offset:2400
	ds_read_b128 v[12:15], v80 offset:4800
	;; [unrolled: 1-line block ×4, first 2 shown]
.LBB0_27:
	s_or_b64 exec, exec, s[0:1]
	s_and_saveexec_b64 s[0:1], s[2:3]
	s_cbranch_execz .LBB0_29
; %bb.28:
	s_waitcnt lgkmcnt(2)
	v_mul_f64 v[20:21], v[50:51], v[12:13]
	s_waitcnt lgkmcnt(1)
	v_mul_f64 v[24:25], v[46:47], v[4:5]
	v_fma_f64 v[22:23], v[48:49], v[14:15], -v[20:21]
	v_mul_f64 v[20:21], v[42:43], v[16:17]
	v_fma_f64 v[28:29], v[44:45], v[6:7], -v[24:25]
	s_waitcnt lgkmcnt(0)
	v_mul_f64 v[24:25], v[38:39], v[0:1]
	v_fma_f64 v[26:27], v[40:41], v[18:19], -v[20:21]
	v_fma_f64 v[30:31], v[36:37], v[2:3], -v[24:25]
	v_mul_f64 v[32:33], v[50:51], v[14:15]
	v_mul_f64 v[6:7], v[46:47], v[6:7]
	v_fmac_f64_e32 v[32:33], v[48:49], v[12:13]
	v_fmac_f64_e32 v[6:7], v[44:45], v[4:5]
	v_add_f64 v[4:5], v[26:27], v[30:31]
	s_mov_b32 s2, 0x134454ff
	v_mul_f64 v[34:35], v[42:43], v[18:19]
	v_mul_f64 v[38:39], v[38:39], v[2:3]
	v_add_f64 v[14:15], v[32:33], -v[6:7]
	v_fma_f64 v[4:5], -0.5, v[4:5], v[10:11]
	s_mov_b32 s3, 0x3fee6f0e
	v_fmac_f64_e32 v[34:35], v[40:41], v[16:17]
	v_fmac_f64_e32 v[38:39], v[36:37], v[0:1]
	s_mov_b32 s6, 0x4755a5e
	s_mov_b32 s19, 0xbfee6f0e
	;; [unrolled: 1-line block ×3, first 2 shown]
	v_add_f64 v[2:3], v[26:27], -v[22:23]
	v_add_f64 v[16:17], v[30:31], -v[28:29]
	;; [unrolled: 1-line block ×4, first 2 shown]
	v_fma_f64 v[12:13], s[2:3], v[14:15], v[4:5]
	v_add_f64 v[0:1], v[34:35], -v[38:39]
	s_mov_b32 s7, 0xbfe2cf23
	s_mov_b32 s16, 0x372fe950
	v_fmac_f64_e32 v[4:5], s[18:19], v[14:15]
	s_mov_b32 s20, s6
	v_add_f64 v[2:3], v[2:3], v[16:17]
	v_add_f64 v[16:17], v[22:23], v[28:29]
	;; [unrolled: 1-line block ×3, first 2 shown]
	v_fmac_f64_e32 v[12:13], s[6:7], v[0:1]
	s_mov_b32 s17, 0x3fd3c6ef
	v_fmac_f64_e32 v[4:5], s[20:21], v[0:1]
	v_fma_f64 v[16:17], -0.5, v[16:17], v[10:11]
	v_fmac_f64_e32 v[12:13], s[16:17], v[20:21]
	v_fmac_f64_e32 v[4:5], s[16:17], v[20:21]
	v_fma_f64 v[20:21], s[18:19], v[0:1], v[16:17]
	v_fmac_f64_e32 v[16:17], s[2:3], v[0:1]
	v_add_f64 v[0:1], v[10:11], v[26:27]
	v_add_f64 v[0:1], v[0:1], v[22:23]
	v_fmac_f64_e32 v[20:21], s[6:7], v[14:15]
	v_fmac_f64_e32 v[16:17], s[20:21], v[14:15]
	v_add_f64 v[0:1], v[0:1], v[28:29]
	v_fmac_f64_e32 v[20:21], s[16:17], v[2:3]
	v_fmac_f64_e32 v[16:17], s[16:17], v[2:3]
	v_add_f64 v[24:25], v[0:1], v[30:31]
	v_add_f64 v[0:1], v[32:33], -v[34:35]
	v_add_f64 v[2:3], v[6:7], -v[38:39]
	v_add_f64 v[0:1], v[0:1], v[2:3]
	v_add_f64 v[2:3], v[34:35], v[38:39]
	v_fma_f64 v[2:3], -0.5, v[2:3], v[8:9]
	v_add_f64 v[22:23], v[22:23], -v[28:29]
	v_add_f64 v[26:27], v[26:27], -v[30:31]
	v_fma_f64 v[10:11], s[18:19], v[22:23], v[2:3]
	v_fmac_f64_e32 v[2:3], s[2:3], v[22:23]
	v_fmac_f64_e32 v[10:11], s[20:21], v[26:27]
	;; [unrolled: 1-line block ×5, first 2 shown]
	v_add_f64 v[0:1], v[34:35], -v[32:33]
	v_add_f64 v[14:15], v[38:39], -v[6:7]
	v_add_f64 v[0:1], v[0:1], v[14:15]
	v_add_f64 v[14:15], v[32:33], v[6:7]
	v_fma_f64 v[14:15], -0.5, v[14:15], v[8:9]
	v_fma_f64 v[18:19], s[2:3], v[26:27], v[14:15]
	v_fmac_f64_e32 v[14:15], s[18:19], v[26:27]
	v_fmac_f64_e32 v[18:19], s[20:21], v[22:23]
	;; [unrolled: 1-line block ×5, first 2 shown]
	v_add_f64 v[0:1], v[8:9], v[34:35]
	v_add_f64 v[0:1], v[0:1], v[32:33]
	;; [unrolled: 1-line block ×4, first 2 shown]
	ds_write_b128 v80, v[22:25]
	ds_write_b128 v80, v[14:17] offset:2400
	ds_write_b128 v80, v[2:5] offset:4800
	;; [unrolled: 1-line block ×4, first 2 shown]
.LBB0_29:
	s_or_b64 exec, exec, s[0:1]
	s_waitcnt lgkmcnt(0)
	s_barrier
	s_and_b64 exec, exec, s[4:5]
	s_cbranch_execz .LBB0_31
; %bb.30:
	global_load_dwordx4 v[0:3], v80, s[14:15]
	global_load_dwordx4 v[4:7], v80, s[14:15] offset:1200
	global_load_dwordx4 v[8:11], v80, s[14:15] offset:2400
	;; [unrolled: 1-line block ×3, first 2 shown]
	v_mov_b32_e32 v81, 0
	s_movk_i32 s0, 0x1000
	v_lshl_add_u64 v[44:45], s[14:15], 0, v[80:81]
	v_add_co_u32_e32 v40, vcc, s0, v44
	v_mad_u64_u32 v[60:61], s[2:3], s8, v83, 0
	s_nop 0
	v_addc_co_u32_e32 v41, vcc, 0, v45, vcc
	global_load_dwordx4 v[16:19], v[40:41], off offset:704
	global_load_dwordx4 v[20:23], v[40:41], off offset:1904
	ds_read_b128 v[24:27], v80
	ds_read_b128 v[28:31], v80 offset:1200
	ds_read_b128 v[32:35], v80 offset:2400
	;; [unrolled: 1-line block ×3, first 2 shown]
	global_load_dwordx4 v[40:43], v[40:41], off offset:3104
	s_movk_i32 s3, 0x2000
	v_mad_u64_u32 v[58:59], s[0:1], s10, v82, 0
	v_add_co_u32_e32 v62, vcc, s3, v44
	v_mov_b32_e32 v46, v59
	s_nop 0
	v_addc_co_u32_e32 v63, vcc, 0, v45, vcc
	v_mad_u64_u32 v[50:51], s[4:5], s11, v82, v[46:47]
	global_load_dwordx4 v[44:47], v[62:63], off offset:208
	v_mov_b32_e32 v48, v61
	v_mad_u64_u32 v[48:49], s[4:5], s9, v83, v[48:49]
	v_mov_b32_e32 v59, v50
	v_mov_b32_e32 v61, v48
	global_load_dwordx4 v[48:51], v[62:63], off offset:1408
	global_load_dwordx4 v[52:55], v[62:63], off offset:2608
	v_mov_b32_e32 v56, s12
	v_mov_b32_e32 v57, s13
	v_lshl_add_u64 v[56:57], v[58:59], 4, v[56:57]
	v_mov_b32_e32 v72, 0x4b0
	v_lshl_add_u64 v[56:57], v[60:61], 4, v[56:57]
	s_mov_b32 s0, 0xc3ece2a5
	s_mul_i32 s2, s9, 0x4b0
	v_mad_u64_u32 v[58:59], s[4:5], s8, v72, v[56:57]
	s_mov_b32 s1, 0x3f55d867
	v_add_u32_e32 v59, s2, v59
	v_mad_u64_u32 v[60:61], s[4:5], s8, v72, v[58:59]
	v_add_u32_e32 v61, s2, v61
	v_mad_u64_u32 v[62:63], s[4:5], s8, v72, v[60:61]
	v_add_u32_e32 v63, s2, v63
	s_waitcnt vmcnt(9) lgkmcnt(3)
	v_mul_f64 v[64:65], v[26:27], v[2:3]
	v_mul_f64 v[2:3], v[24:25], v[2:3]
	v_fmac_f64_e32 v[64:65], v[24:25], v[0:1]
	v_fma_f64 v[2:3], v[0:1], v[26:27], -v[2:3]
	s_waitcnt vmcnt(8) lgkmcnt(2)
	v_mul_f64 v[66:67], v[30:31], v[6:7]
	v_mul_f64 v[6:7], v[28:29], v[6:7]
	;; [unrolled: 1-line block ×4, first 2 shown]
	s_waitcnt vmcnt(7) lgkmcnt(1)
	v_mul_f64 v[68:69], v[34:35], v[10:11]
	v_mul_f64 v[10:11], v[32:33], v[10:11]
	s_waitcnt vmcnt(6) lgkmcnt(0)
	v_mul_f64 v[70:71], v[38:39], v[14:15]
	v_mul_f64 v[14:15], v[36:37], v[14:15]
	v_fmac_f64_e32 v[66:67], v[28:29], v[4:5]
	v_fma_f64 v[6:7], v[4:5], v[30:31], -v[6:7]
	global_store_dwordx4 v[56:57], v[0:3], off
	ds_read_b128 v[0:3], v80 offset:4800
	v_fmac_f64_e32 v[68:69], v[32:33], v[8:9]
	v_fma_f64 v[10:11], v[8:9], v[34:35], -v[10:11]
	v_fmac_f64_e32 v[70:71], v[36:37], v[12:13]
	v_fma_f64 v[14:15], v[12:13], v[38:39], -v[14:15]
	v_mul_f64 v[4:5], v[66:67], s[0:1]
	v_mul_f64 v[6:7], v[6:7], s[0:1]
	;; [unrolled: 1-line block ×6, first 2 shown]
	global_store_dwordx4 v[58:59], v[4:7], off
	global_store_dwordx4 v[60:61], v[8:11], off
	;; [unrolled: 1-line block ×3, first 2 shown]
	ds_read_b128 v[4:7], v80 offset:6000
	s_waitcnt vmcnt(9) lgkmcnt(1)
	v_mul_f64 v[8:9], v[2:3], v[18:19]
	v_fmac_f64_e32 v[8:9], v[0:1], v[16:17]
	v_mul_f64 v[0:1], v[0:1], v[18:19]
	v_fma_f64 v[0:1], v[16:17], v[2:3], -v[0:1]
	v_mul_f64 v[10:11], v[0:1], s[0:1]
	v_mad_u64_u32 v[12:13], s[4:5], s8, v72, v[62:63]
	s_waitcnt vmcnt(8) lgkmcnt(0)
	v_mul_f64 v[0:1], v[6:7], v[22:23]
	v_mul_f64 v[2:3], v[4:5], v[22:23]
	;; [unrolled: 1-line block ×3, first 2 shown]
	v_add_u32_e32 v13, s2, v13
	v_fmac_f64_e32 v[0:1], v[4:5], v[20:21]
	v_fma_f64 v[2:3], v[20:21], v[6:7], -v[2:3]
	ds_read_b128 v[4:7], v80 offset:7200
	global_store_dwordx4 v[12:13], v[8:11], off
	v_mad_u64_u32 v[12:13], s[4:5], s8, v72, v[12:13]
	v_mul_f64 v[0:1], v[0:1], s[0:1]
	v_mul_f64 v[2:3], v[2:3], s[0:1]
	v_add_u32_e32 v13, s2, v13
	global_store_dwordx4 v[12:13], v[0:3], off
	ds_read_b128 v[0:3], v80 offset:8400
	s_waitcnt vmcnt(9) lgkmcnt(1)
	v_mul_f64 v[8:9], v[6:7], v[42:43]
	v_fmac_f64_e32 v[8:9], v[4:5], v[40:41]
	v_mul_f64 v[4:5], v[4:5], v[42:43]
	v_fma_f64 v[4:5], v[40:41], v[6:7], -v[4:5]
	v_mul_f64 v[10:11], v[4:5], s[0:1]
	s_waitcnt vmcnt(8) lgkmcnt(0)
	v_mul_f64 v[4:5], v[2:3], v[46:47]
	v_fmac_f64_e32 v[4:5], v[0:1], v[44:45]
	v_mul_f64 v[0:1], v[0:1], v[46:47]
	v_mad_u64_u32 v[12:13], s[4:5], s8, v72, v[12:13]
	v_fma_f64 v[0:1], v[44:45], v[2:3], -v[0:1]
	v_mul_f64 v[8:9], v[8:9], s[0:1]
	v_add_u32_e32 v13, s2, v13
	v_mul_f64 v[6:7], v[0:1], s[0:1]
	ds_read_b128 v[0:3], v80 offset:9600
	global_store_dwordx4 v[12:13], v[8:11], off
	v_mad_u64_u32 v[12:13], s[4:5], s8, v72, v[12:13]
	v_mul_f64 v[4:5], v[4:5], s[0:1]
	v_add_u32_e32 v13, s2, v13
	global_store_dwordx4 v[12:13], v[4:7], off
	ds_read_b128 v[4:7], v80 offset:10800
	s_waitcnt vmcnt(9) lgkmcnt(1)
	v_mul_f64 v[8:9], v[2:3], v[50:51]
	v_fmac_f64_e32 v[8:9], v[0:1], v[48:49]
	v_mul_f64 v[0:1], v[0:1], v[50:51]
	v_fma_f64 v[0:1], v[48:49], v[2:3], -v[0:1]
	v_mul_f64 v[10:11], v[0:1], s[0:1]
	v_mad_u64_u32 v[12:13], s[4:5], s8, v72, v[12:13]
	s_waitcnt vmcnt(8) lgkmcnt(0)
	v_mul_f64 v[0:1], v[6:7], v[54:55]
	v_mul_f64 v[2:3], v[4:5], v[54:55]
	v_add_u32_e32 v13, s2, v13
	v_fmac_f64_e32 v[0:1], v[4:5], v[52:53]
	v_fma_f64 v[2:3], v[52:53], v[6:7], -v[2:3]
	v_mul_f64 v[8:9], v[8:9], s[0:1]
	v_mul_f64 v[0:1], v[0:1], s[0:1]
	;; [unrolled: 1-line block ×3, first 2 shown]
	v_mad_u64_u32 v[4:5], s[0:1], s8, v72, v[12:13]
	v_add_u32_e32 v5, s2, v5
	global_store_dwordx4 v[12:13], v[8:11], off
	global_store_dwordx4 v[4:5], v[0:3], off
.LBB0_31:
	s_endpgm
	.section	.rodata,"a",@progbits
	.p2align	6, 0x0
	.amdhsa_kernel bluestein_single_fwd_len750_dim1_dp_op_CI_CI
		.amdhsa_group_segment_fixed_size 12000
		.amdhsa_private_segment_fixed_size 0
		.amdhsa_kernarg_size 104
		.amdhsa_user_sgpr_count 2
		.amdhsa_user_sgpr_dispatch_ptr 0
		.amdhsa_user_sgpr_queue_ptr 0
		.amdhsa_user_sgpr_kernarg_segment_ptr 1
		.amdhsa_user_sgpr_dispatch_id 0
		.amdhsa_user_sgpr_kernarg_preload_length 0
		.amdhsa_user_sgpr_kernarg_preload_offset 0
		.amdhsa_user_sgpr_private_segment_size 0
		.amdhsa_uses_dynamic_stack 0
		.amdhsa_enable_private_segment 0
		.amdhsa_system_sgpr_workgroup_id_x 1
		.amdhsa_system_sgpr_workgroup_id_y 0
		.amdhsa_system_sgpr_workgroup_id_z 0
		.amdhsa_system_sgpr_workgroup_info 0
		.amdhsa_system_vgpr_workitem_id 0
		.amdhsa_next_free_vgpr 124
		.amdhsa_next_free_sgpr 24
		.amdhsa_accum_offset 124
		.amdhsa_reserve_vcc 1
		.amdhsa_float_round_mode_32 0
		.amdhsa_float_round_mode_16_64 0
		.amdhsa_float_denorm_mode_32 3
		.amdhsa_float_denorm_mode_16_64 3
		.amdhsa_dx10_clamp 1
		.amdhsa_ieee_mode 1
		.amdhsa_fp16_overflow 0
		.amdhsa_tg_split 0
		.amdhsa_exception_fp_ieee_invalid_op 0
		.amdhsa_exception_fp_denorm_src 0
		.amdhsa_exception_fp_ieee_div_zero 0
		.amdhsa_exception_fp_ieee_overflow 0
		.amdhsa_exception_fp_ieee_underflow 0
		.amdhsa_exception_fp_ieee_inexact 0
		.amdhsa_exception_int_div_zero 0
	.end_amdhsa_kernel
	.text
.Lfunc_end0:
	.size	bluestein_single_fwd_len750_dim1_dp_op_CI_CI, .Lfunc_end0-bluestein_single_fwd_len750_dim1_dp_op_CI_CI
                                        ; -- End function
	.section	.AMDGPU.csdata,"",@progbits
; Kernel info:
; codeLenInByte = 8936
; NumSgprs: 30
; NumVgprs: 124
; NumAgprs: 0
; TotalNumVgprs: 124
; ScratchSize: 0
; MemoryBound: 0
; FloatMode: 240
; IeeeMode: 1
; LDSByteSize: 12000 bytes/workgroup (compile time only)
; SGPRBlocks: 3
; VGPRBlocks: 15
; NumSGPRsForWavesPerEU: 30
; NumVGPRsForWavesPerEU: 124
; AccumOffset: 124
; Occupancy: 4
; WaveLimiterHint : 1
; COMPUTE_PGM_RSRC2:SCRATCH_EN: 0
; COMPUTE_PGM_RSRC2:USER_SGPR: 2
; COMPUTE_PGM_RSRC2:TRAP_HANDLER: 0
; COMPUTE_PGM_RSRC2:TGID_X_EN: 1
; COMPUTE_PGM_RSRC2:TGID_Y_EN: 0
; COMPUTE_PGM_RSRC2:TGID_Z_EN: 0
; COMPUTE_PGM_RSRC2:TIDIG_COMP_CNT: 0
; COMPUTE_PGM_RSRC3_GFX90A:ACCUM_OFFSET: 30
; COMPUTE_PGM_RSRC3_GFX90A:TG_SPLIT: 0
	.text
	.p2alignl 6, 3212836864
	.fill 256, 4, 3212836864
	.type	__hip_cuid_3bdb536a6b6eaba2,@object ; @__hip_cuid_3bdb536a6b6eaba2
	.section	.bss,"aw",@nobits
	.globl	__hip_cuid_3bdb536a6b6eaba2
__hip_cuid_3bdb536a6b6eaba2:
	.byte	0                               ; 0x0
	.size	__hip_cuid_3bdb536a6b6eaba2, 1

	.ident	"AMD clang version 19.0.0git (https://github.com/RadeonOpenCompute/llvm-project roc-6.4.0 25133 c7fe45cf4b819c5991fe208aaa96edf142730f1d)"
	.section	".note.GNU-stack","",@progbits
	.addrsig
	.addrsig_sym __hip_cuid_3bdb536a6b6eaba2
	.amdgpu_metadata
---
amdhsa.kernels:
  - .agpr_count:     0
    .args:
      - .actual_access:  read_only
        .address_space:  global
        .offset:         0
        .size:           8
        .value_kind:     global_buffer
      - .actual_access:  read_only
        .address_space:  global
        .offset:         8
        .size:           8
        .value_kind:     global_buffer
      - .actual_access:  read_only
        .address_space:  global
        .offset:         16
        .size:           8
        .value_kind:     global_buffer
      - .actual_access:  read_only
        .address_space:  global
        .offset:         24
        .size:           8
        .value_kind:     global_buffer
      - .actual_access:  read_only
        .address_space:  global
        .offset:         32
        .size:           8
        .value_kind:     global_buffer
      - .offset:         40
        .size:           8
        .value_kind:     by_value
      - .address_space:  global
        .offset:         48
        .size:           8
        .value_kind:     global_buffer
      - .address_space:  global
        .offset:         56
        .size:           8
        .value_kind:     global_buffer
      - .address_space:  global
        .offset:         64
        .size:           8
        .value_kind:     global_buffer
      - .address_space:  global
        .offset:         72
        .size:           8
        .value_kind:     global_buffer
      - .offset:         80
        .size:           4
        .value_kind:     by_value
      - .address_space:  global
        .offset:         88
        .size:           8
        .value_kind:     global_buffer
      - .address_space:  global
        .offset:         96
        .size:           8
        .value_kind:     global_buffer
    .group_segment_fixed_size: 12000
    .kernarg_segment_align: 8
    .kernarg_segment_size: 104
    .language:       OpenCL C
    .language_version:
      - 2
      - 0
    .max_flat_workgroup_size: 250
    .name:           bluestein_single_fwd_len750_dim1_dp_op_CI_CI
    .private_segment_fixed_size: 0
    .sgpr_count:     30
    .sgpr_spill_count: 0
    .symbol:         bluestein_single_fwd_len750_dim1_dp_op_CI_CI.kd
    .uniform_work_group_size: 1
    .uses_dynamic_stack: false
    .vgpr_count:     124
    .vgpr_spill_count: 0
    .wavefront_size: 64
amdhsa.target:   amdgcn-amd-amdhsa--gfx950
amdhsa.version:
  - 1
  - 2
...

	.end_amdgpu_metadata
